;; amdgpu-corpus repo=ROCm/rocFFT kind=compiled arch=gfx906 opt=O3
	.text
	.amdgcn_target "amdgcn-amd-amdhsa--gfx906"
	.amdhsa_code_object_version 6
	.protected	fft_rtc_back_len1760_factors_2_2_2_2_2_11_5_wgs_176_tpt_176_halfLds_half_op_CI_CI_unitstride_sbrr_C2R_dirReg ; -- Begin function fft_rtc_back_len1760_factors_2_2_2_2_2_11_5_wgs_176_tpt_176_halfLds_half_op_CI_CI_unitstride_sbrr_C2R_dirReg
	.globl	fft_rtc_back_len1760_factors_2_2_2_2_2_11_5_wgs_176_tpt_176_halfLds_half_op_CI_CI_unitstride_sbrr_C2R_dirReg
	.p2align	8
	.type	fft_rtc_back_len1760_factors_2_2_2_2_2_11_5_wgs_176_tpt_176_halfLds_half_op_CI_CI_unitstride_sbrr_C2R_dirReg,@function
fft_rtc_back_len1760_factors_2_2_2_2_2_11_5_wgs_176_tpt_176_halfLds_half_op_CI_CI_unitstride_sbrr_C2R_dirReg: ; @fft_rtc_back_len1760_factors_2_2_2_2_2_11_5_wgs_176_tpt_176_halfLds_half_op_CI_CI_unitstride_sbrr_C2R_dirReg
; %bb.0:
	s_load_dwordx4 s[8:11], s[4:5], 0x58
	s_load_dwordx4 s[12:15], s[4:5], 0x0
	;; [unrolled: 1-line block ×3, first 2 shown]
	v_mul_u32_u24_e32 v1, 0x175, v0
	v_mov_b32_e32 v8, 0
	v_mov_b32_e32 v6, 0
	s_waitcnt lgkmcnt(0)
	v_cmp_lt_u64_e64 s[0:1], s[14:15], 2
	v_add_u32_sdwa v10, s6, v1 dst_sel:DWORD dst_unused:UNUSED_PAD src0_sel:DWORD src1_sel:WORD_1
	v_mov_b32_e32 v11, v8
	s_and_b64 vcc, exec, s[0:1]
	v_mov_b32_e32 v7, 0
	s_cbranch_vccnz .LBB0_8
; %bb.1:
	s_load_dwordx2 s[0:1], s[4:5], 0x10
	s_add_u32 s2, s18, 8
	s_addc_u32 s3, s19, 0
	s_add_u32 s6, s16, 8
	s_addc_u32 s7, s17, 0
	v_mov_b32_e32 v6, 0
	s_waitcnt lgkmcnt(0)
	s_add_u32 s20, s0, 8
	v_mov_b32_e32 v7, 0
	v_mov_b32_e32 v1, v6
	s_addc_u32 s21, s1, 0
	s_mov_b64 s[22:23], 1
	v_mov_b32_e32 v2, v7
.LBB0_2:                                ; =>This Inner Loop Header: Depth=1
	s_load_dwordx2 s[24:25], s[20:21], 0x0
                                        ; implicit-def: $vgpr3_vgpr4
	s_waitcnt lgkmcnt(0)
	v_or_b32_e32 v9, s25, v11
	v_cmp_ne_u64_e32 vcc, 0, v[8:9]
	s_and_saveexec_b64 s[0:1], vcc
	s_xor_b64 s[26:27], exec, s[0:1]
	s_cbranch_execz .LBB0_4
; %bb.3:                                ;   in Loop: Header=BB0_2 Depth=1
	v_cvt_f32_u32_e32 v3, s24
	v_cvt_f32_u32_e32 v4, s25
	s_sub_u32 s0, 0, s24
	s_subb_u32 s1, 0, s25
	v_mac_f32_e32 v3, 0x4f800000, v4
	v_rcp_f32_e32 v3, v3
	v_mul_f32_e32 v3, 0x5f7ffffc, v3
	v_mul_f32_e32 v4, 0x2f800000, v3
	v_trunc_f32_e32 v4, v4
	v_mac_f32_e32 v3, 0xcf800000, v4
	v_cvt_u32_f32_e32 v4, v4
	v_cvt_u32_f32_e32 v3, v3
	v_mul_lo_u32 v5, s0, v4
	v_mul_hi_u32 v9, s0, v3
	v_mul_lo_u32 v13, s1, v3
	v_mul_lo_u32 v12, s0, v3
	v_add_u32_e32 v5, v9, v5
	v_add_u32_e32 v5, v5, v13
	v_mul_hi_u32 v9, v3, v12
	v_mul_lo_u32 v13, v3, v5
	v_mul_hi_u32 v15, v3, v5
	v_mul_hi_u32 v14, v4, v12
	v_mul_lo_u32 v12, v4, v12
	v_mul_hi_u32 v16, v4, v5
	v_add_co_u32_e32 v9, vcc, v9, v13
	v_addc_co_u32_e32 v13, vcc, 0, v15, vcc
	v_mul_lo_u32 v5, v4, v5
	v_add_co_u32_e32 v9, vcc, v9, v12
	v_addc_co_u32_e32 v9, vcc, v13, v14, vcc
	v_addc_co_u32_e32 v12, vcc, 0, v16, vcc
	v_add_co_u32_e32 v5, vcc, v9, v5
	v_addc_co_u32_e32 v9, vcc, 0, v12, vcc
	v_add_co_u32_e32 v3, vcc, v3, v5
	v_addc_co_u32_e32 v4, vcc, v4, v9, vcc
	v_mul_lo_u32 v5, s0, v4
	v_mul_hi_u32 v9, s0, v3
	v_mul_lo_u32 v12, s1, v3
	v_mul_lo_u32 v13, s0, v3
	v_add_u32_e32 v5, v9, v5
	v_add_u32_e32 v5, v5, v12
	v_mul_lo_u32 v14, v3, v5
	v_mul_hi_u32 v15, v3, v13
	v_mul_hi_u32 v16, v3, v5
	v_mul_hi_u32 v12, v4, v13
	v_mul_lo_u32 v13, v4, v13
	v_mul_hi_u32 v9, v4, v5
	v_add_co_u32_e32 v14, vcc, v15, v14
	v_addc_co_u32_e32 v15, vcc, 0, v16, vcc
	v_mul_lo_u32 v5, v4, v5
	v_add_co_u32_e32 v13, vcc, v14, v13
	v_addc_co_u32_e32 v12, vcc, v15, v12, vcc
	v_addc_co_u32_e32 v9, vcc, 0, v9, vcc
	v_add_co_u32_e32 v5, vcc, v12, v5
	v_addc_co_u32_e32 v9, vcc, 0, v9, vcc
	v_add_co_u32_e32 v5, vcc, v3, v5
	v_addc_co_u32_e32 v9, vcc, v4, v9, vcc
	v_mad_u64_u32 v[3:4], s[0:1], v10, v9, 0
	v_mul_hi_u32 v12, v10, v5
	v_add_co_u32_e32 v14, vcc, v12, v3
	v_addc_co_u32_e32 v15, vcc, 0, v4, vcc
	v_mad_u64_u32 v[3:4], s[0:1], v11, v5, 0
	v_mad_u64_u32 v[12:13], s[0:1], v11, v9, 0
	v_add_co_u32_e32 v3, vcc, v14, v3
	v_addc_co_u32_e32 v3, vcc, v15, v4, vcc
	v_addc_co_u32_e32 v4, vcc, 0, v13, vcc
	v_add_co_u32_e32 v5, vcc, v3, v12
	v_addc_co_u32_e32 v9, vcc, 0, v4, vcc
	v_mul_lo_u32 v12, s25, v5
	v_mul_lo_u32 v13, s24, v9
	v_mad_u64_u32 v[3:4], s[0:1], s24, v5, 0
	v_add3_u32 v4, v4, v13, v12
	v_sub_u32_e32 v12, v11, v4
	v_mov_b32_e32 v13, s25
	v_sub_co_u32_e32 v3, vcc, v10, v3
	v_subb_co_u32_e64 v12, s[0:1], v12, v13, vcc
	v_subrev_co_u32_e64 v13, s[0:1], s24, v3
	v_subbrev_co_u32_e64 v12, s[0:1], 0, v12, s[0:1]
	v_cmp_le_u32_e64 s[0:1], s25, v12
	v_cndmask_b32_e64 v14, 0, -1, s[0:1]
	v_cmp_le_u32_e64 s[0:1], s24, v13
	v_cndmask_b32_e64 v13, 0, -1, s[0:1]
	v_cmp_eq_u32_e64 s[0:1], s25, v12
	v_cndmask_b32_e64 v12, v14, v13, s[0:1]
	v_add_co_u32_e64 v13, s[0:1], 2, v5
	v_addc_co_u32_e64 v14, s[0:1], 0, v9, s[0:1]
	v_add_co_u32_e64 v15, s[0:1], 1, v5
	v_addc_co_u32_e64 v16, s[0:1], 0, v9, s[0:1]
	v_subb_co_u32_e32 v4, vcc, v11, v4, vcc
	v_cmp_ne_u32_e64 s[0:1], 0, v12
	v_cmp_le_u32_e32 vcc, s25, v4
	v_cndmask_b32_e64 v12, v16, v14, s[0:1]
	v_cndmask_b32_e64 v14, 0, -1, vcc
	v_cmp_le_u32_e32 vcc, s24, v3
	v_cndmask_b32_e64 v3, 0, -1, vcc
	v_cmp_eq_u32_e32 vcc, s25, v4
	v_cndmask_b32_e32 v3, v14, v3, vcc
	v_cmp_ne_u32_e32 vcc, 0, v3
	v_cndmask_b32_e64 v3, v15, v13, s[0:1]
	v_cndmask_b32_e32 v4, v9, v12, vcc
	v_cndmask_b32_e32 v3, v5, v3, vcc
.LBB0_4:                                ;   in Loop: Header=BB0_2 Depth=1
	s_andn2_saveexec_b64 s[0:1], s[26:27]
	s_cbranch_execz .LBB0_6
; %bb.5:                                ;   in Loop: Header=BB0_2 Depth=1
	v_cvt_f32_u32_e32 v3, s24
	s_sub_i32 s26, 0, s24
	v_rcp_iflag_f32_e32 v3, v3
	v_mul_f32_e32 v3, 0x4f7ffffe, v3
	v_cvt_u32_f32_e32 v3, v3
	v_mul_lo_u32 v4, s26, v3
	v_mul_hi_u32 v4, v3, v4
	v_add_u32_e32 v3, v3, v4
	v_mul_hi_u32 v3, v10, v3
	v_mul_lo_u32 v4, v3, s24
	v_add_u32_e32 v5, 1, v3
	v_sub_u32_e32 v4, v10, v4
	v_subrev_u32_e32 v9, s24, v4
	v_cmp_le_u32_e32 vcc, s24, v4
	v_cndmask_b32_e32 v4, v4, v9, vcc
	v_cndmask_b32_e32 v3, v3, v5, vcc
	v_add_u32_e32 v5, 1, v3
	v_cmp_le_u32_e32 vcc, s24, v4
	v_cndmask_b32_e32 v3, v3, v5, vcc
	v_mov_b32_e32 v4, v8
.LBB0_6:                                ;   in Loop: Header=BB0_2 Depth=1
	s_or_b64 exec, exec, s[0:1]
	v_mul_lo_u32 v5, v4, s24
	v_mul_lo_u32 v9, v3, s25
	v_mad_u64_u32 v[12:13], s[0:1], v3, s24, 0
	s_load_dwordx2 s[0:1], s[6:7], 0x0
	s_load_dwordx2 s[24:25], s[2:3], 0x0
	v_add3_u32 v5, v13, v9, v5
	v_sub_co_u32_e32 v9, vcc, v10, v12
	v_subb_co_u32_e32 v5, vcc, v11, v5, vcc
	s_waitcnt lgkmcnt(0)
	v_mul_lo_u32 v10, s0, v5
	v_mul_lo_u32 v11, s1, v9
	v_mad_u64_u32 v[6:7], s[0:1], s0, v9, v[6:7]
	s_add_u32 s22, s22, 1
	s_addc_u32 s23, s23, 0
	s_add_u32 s2, s2, 8
	v_mul_lo_u32 v5, s24, v5
	v_mul_lo_u32 v12, s25, v9
	v_mad_u64_u32 v[1:2], s[0:1], s24, v9, v[1:2]
	v_add3_u32 v7, v11, v7, v10
	s_addc_u32 s3, s3, 0
	v_mov_b32_e32 v9, s14
	s_add_u32 s6, s6, 8
	v_mov_b32_e32 v10, s15
	s_addc_u32 s7, s7, 0
	v_cmp_ge_u64_e32 vcc, s[22:23], v[9:10]
	s_add_u32 s20, s20, 8
	v_add3_u32 v2, v12, v2, v5
	s_addc_u32 s21, s21, 0
	s_cbranch_vccnz .LBB0_9
; %bb.7:                                ;   in Loop: Header=BB0_2 Depth=1
	v_mov_b32_e32 v11, v4
	v_mov_b32_e32 v10, v3
	s_branch .LBB0_2
.LBB0_8:
	v_mov_b32_e32 v1, v6
	v_mov_b32_e32 v3, v10
	;; [unrolled: 1-line block ×4, first 2 shown]
.LBB0_9:
	s_load_dwordx2 s[4:5], s[4:5], 0x28
	s_lshl_b64 s[6:7], s[14:15], 3
	s_add_u32 s2, s18, s6
	s_addc_u32 s3, s19, s7
                                        ; implicit-def: $vgpr5
	s_waitcnt lgkmcnt(0)
	v_cmp_gt_u64_e64 s[0:1], s[4:5], v[3:4]
	v_cmp_le_u64_e32 vcc, s[4:5], v[3:4]
	s_and_saveexec_b64 s[4:5], vcc
	s_xor_b64 s[4:5], exec, s[4:5]
; %bb.10:
	s_mov_b32 s14, 0x1745d18
	v_mul_hi_u32 v5, v0, s14
                                        ; implicit-def: $vgpr6_vgpr7
	v_mul_u32_u24_e32 v5, 0xb0, v5
	v_sub_u32_e32 v5, v0, v5
                                        ; implicit-def: $vgpr0
; %bb.11:
	s_or_saveexec_b64 s[4:5], s[4:5]
	s_load_dwordx2 s[2:3], s[2:3], 0x0
	s_xor_b64 exec, exec, s[4:5]
	s_cbranch_execz .LBB0_15
; %bb.12:
	s_add_u32 s6, s16, s6
	s_addc_u32 s7, s17, s7
	s_load_dwordx2 s[6:7], s[6:7], 0x0
	s_mov_b32 s14, 0x1745d18
	v_mul_hi_u32 v5, v0, s14
	v_lshlrev_b64 v[6:7], 2, v[6:7]
	s_waitcnt lgkmcnt(0)
	v_mul_lo_u32 v10, s7, v3
	v_mul_lo_u32 v11, s6, v4
	v_mad_u64_u32 v[8:9], s[6:7], s6, v3, 0
	v_mul_u32_u24_e32 v5, 0xb0, v5
	v_sub_u32_e32 v5, v0, v5
	v_add3_u32 v9, v9, v11, v10
	v_lshlrev_b64 v[8:9], 2, v[8:9]
	v_mov_b32_e32 v0, s9
	v_add_co_u32_e32 v8, vcc, s8, v8
	v_addc_co_u32_e32 v0, vcc, v0, v9, vcc
	v_add_co_u32_e32 v6, vcc, v8, v6
	v_addc_co_u32_e32 v0, vcc, v0, v7, vcc
	v_lshlrev_b32_e32 v11, 2, v5
	v_add_co_u32_e32 v7, vcc, v6, v11
	v_addc_co_u32_e32 v8, vcc, 0, v0, vcc
	s_movk_i32 s6, 0x1000
	v_add_co_u32_e32 v9, vcc, s6, v7
	v_addc_co_u32_e32 v10, vcc, 0, v8, vcc
	global_load_dword v12, v[7:8], off
	global_load_dword v13, v[7:8], off offset:704
	global_load_dword v14, v[7:8], off offset:1408
	;; [unrolled: 1-line block ×9, first 2 shown]
	s_movk_i32 s6, 0xaf
	v_add_u32_e32 v7, 0, v11
	v_cmp_eq_u32_e32 vcc, s6, v5
	v_add_u32_e32 v8, 0x500, v7
	v_add_u32_e32 v9, 0xa00, v7
	;; [unrolled: 1-line block ×4, first 2 shown]
	s_waitcnt vmcnt(8)
	ds_write2_b32 v7, v12, v13 offset1:176
	s_waitcnt vmcnt(6)
	ds_write2_b32 v8, v14, v15 offset0:32 offset1:208
	s_waitcnt vmcnt(4)
	ds_write2_b32 v9, v16, v17 offset0:64 offset1:240
	;; [unrolled: 2-line block ×3, first 2 shown]
	s_waitcnt vmcnt(0)
	ds_write2_b32 v11, v20, v21 offset1:176
	s_and_saveexec_b64 s[6:7], vcc
	s_cbranch_execz .LBB0_14
; %bb.13:
	v_add_co_u32_e32 v5, vcc, 0x1000, v6
	v_addc_co_u32_e32 v6, vcc, 0, v0, vcc
	global_load_dword v0, v[5:6], off offset:2944
	v_mov_b32_e32 v5, 0
	s_waitcnt vmcnt(0)
	ds_write_b32 v5, v0 offset:7040
	v_mov_b32_e32 v5, 0xaf
.LBB0_14:
	s_or_b64 exec, exec, s[6:7]
.LBB0_15:
	s_or_b64 exec, exec, s[4:5]
	v_lshlrev_b32_e32 v7, 2, v5
	v_add_u32_e32 v0, 0, v7
	s_waitcnt lgkmcnt(0)
	s_barrier
	v_sub_u32_e32 v11, 0, v7
	ds_read_u16 v13, v0
	ds_read_u16 v14, v11 offset:7040
	s_add_u32 s6, s12, 0x1b78
	s_addc_u32 s7, s13, 0
	v_cmp_ne_u32_e32 vcc, 0, v5
                                        ; implicit-def: $vgpr8_vgpr9
	s_waitcnt lgkmcnt(0)
	v_add_f16_e32 v10, v14, v13
	v_sub_f16_e32 v12, v13, v14
	s_and_saveexec_b64 s[4:5], vcc
	s_xor_b64 s[4:5], exec, s[4:5]
	s_cbranch_execz .LBB0_17
; %bb.16:
	v_mov_b32_e32 v6, 0
	v_lshlrev_b64 v[8:9], 2, v[5:6]
	v_mov_b32_e32 v10, s7
	v_add_co_u32_e32 v8, vcc, s6, v8
	v_addc_co_u32_e32 v9, vcc, v10, v9, vcc
	global_load_dword v8, v[8:9], off
	ds_read_u16 v9, v11 offset:7042
	ds_read_u16 v10, v0 offset:2
	v_add_f16_e32 v12, v14, v13
	v_sub_f16_e32 v13, v13, v14
	s_waitcnt lgkmcnt(0)
	v_add_f16_e32 v14, v9, v10
	v_sub_f16_e32 v9, v10, v9
	s_waitcnt vmcnt(0)
	v_lshrrev_b32_e32 v10, 16, v8
	v_fma_f16 v15, v13, v10, v12
	v_fma_f16 v16, v14, v10, v9
	v_fma_f16 v17, -v13, v10, v12
	v_fma_f16 v9, v14, v10, -v9
	v_fma_f16 v10, -v8, v14, v15
	v_fma_f16 v12, v13, v8, v16
	v_fma_f16 v14, v8, v14, v17
	;; [unrolled: 1-line block ×3, first 2 shown]
	v_pack_b32_f16 v8, v14, v8
	ds_write_b32 v11, v8 offset:7040
	v_mov_b32_e32 v9, v6
	v_mov_b32_e32 v8, v5
.LBB0_17:
	s_andn2_saveexec_b64 s[4:5], s[4:5]
	s_cbranch_execz .LBB0_19
; %bb.18:
	v_mov_b32_e32 v6, 0
	ds_read_b32 v8, v6 offset:3520
	s_mov_b32 s8, 0xc0004000
	s_waitcnt lgkmcnt(0)
	v_pk_mul_f16 v13, v8, s8
	v_mov_b32_e32 v8, 0
	v_mov_b32_e32 v9, 0
	ds_write_b32 v6, v13 offset:3520
.LBB0_19:
	s_or_b64 exec, exec, s[4:5]
	v_lshlrev_b64 v[8:9], 2, v[8:9]
	v_mov_b32_e32 v6, s7
	v_add_co_u32_e32 v8, vcc, s6, v8
	v_addc_co_u32_e32 v9, vcc, v6, v9, vcc
	global_load_dword v6, v[8:9], off offset:704
	global_load_dword v13, v[8:9], off offset:1408
	;; [unrolled: 1-line block ×4, first 2 shown]
	s_mov_b32 s4, 0x5040100
	v_perm_b32 v8, v12, v10, s4
	ds_write_b32 v0, v8
	ds_read_b32 v8, v0 offset:704
	ds_read_b32 v9, v11 offset:6336
	v_add_u32_e32 v18, 0xa00, v0
	v_add_u32_e32 v17, v0, v7
	;; [unrolled: 1-line block ×4, first 2 shown]
	s_waitcnt lgkmcnt(0)
	v_add_f16_e32 v10, v8, v9
	v_add_f16_sdwa v12, v9, v8 dst_sel:DWORD dst_unused:UNUSED_PAD src0_sel:WORD_1 src1_sel:WORD_1
	v_sub_f16_e32 v16, v8, v9
	v_sub_f16_sdwa v8, v8, v9 dst_sel:DWORD dst_unused:UNUSED_PAD src0_sel:WORD_1 src1_sel:WORD_1
	v_add_u32_e32 v25, 0x2c0, v5
	v_lshl_add_u32 v27, v23, 3, 0
	s_movk_i32 s5, 0x1fc
	s_movk_i32 s6, 0x3fc
	;; [unrolled: 1-line block ×3, first 2 shown]
	v_lshlrev_b32_e32 v23, 1, v23
	s_mov_b32 s4, 0xffff
	s_movk_i32 s8, 0xa0
	v_cmp_gt_u32_e32 vcc, s8, v5
	s_waitcnt vmcnt(3)
	v_lshrrev_b32_e32 v9, 16, v6
	v_fma_f16 v19, v16, v9, v10
	v_fma_f16 v20, v12, v9, v8
	v_fma_f16 v10, -v16, v9, v10
	v_fma_f16 v8, v12, v9, -v8
	v_fma_f16 v9, -v6, v12, v19
	v_fma_f16 v19, v16, v6, v20
	v_fma_f16 v10, v6, v12, v10
	;; [unrolled: 1-line block ×3, first 2 shown]
	v_pack_b32_f16 v8, v9, v19
	v_pack_b32_f16 v6, v10, v6
	ds_write_b32 v0, v8 offset:704
	ds_write_b32 v11, v6 offset:6336
	ds_read_b32 v6, v0 offset:1408
	ds_read_b32 v12, v11 offset:5632
	s_waitcnt vmcnt(2)
	v_lshrrev_b32_e32 v16, 16, v13
	v_add_u32_e32 v8, 0x1000, v0
	v_add_u32_e32 v9, 0x500, v0
	;; [unrolled: 1-line block ×3, first 2 shown]
	s_waitcnt lgkmcnt(0)
	v_add_f16_e32 v19, v6, v12
	v_add_f16_sdwa v20, v12, v6 dst_sel:DWORD dst_unused:UNUSED_PAD src0_sel:WORD_1 src1_sel:WORD_1
	v_sub_f16_e32 v21, v6, v12
	v_sub_f16_sdwa v6, v6, v12 dst_sel:DWORD dst_unused:UNUSED_PAD src0_sel:WORD_1 src1_sel:WORD_1
	v_fma_f16 v12, v21, v16, v19
	v_fma_f16 v22, v20, v16, v6
	v_fma_f16 v19, -v21, v16, v19
	v_fma_f16 v6, v20, v16, -v6
	v_fma_f16 v12, -v13, v20, v12
	v_fma_f16 v16, v21, v13, v22
	v_fma_f16 v19, v13, v20, v19
	;; [unrolled: 1-line block ×3, first 2 shown]
	v_pack_b32_f16 v12, v12, v16
	v_pack_b32_f16 v6, v19, v6
	ds_write_b32 v0, v12 offset:1408
	ds_write_b32 v11, v6 offset:5632
	ds_read_b32 v12, v0 offset:2112
	ds_read_b32 v13, v11 offset:4928
	s_waitcnt vmcnt(1)
	v_lshrrev_b32_e32 v16, 16, v14
	v_add_u32_e32 v6, 0xb0, v5
	v_lshl_add_u32 v26, v6, 3, 0
	v_lshlrev_b32_e32 v28, 1, v6
	s_waitcnt lgkmcnt(0)
	v_add_f16_e32 v19, v12, v13
	v_add_f16_sdwa v20, v13, v12 dst_sel:DWORD dst_unused:UNUSED_PAD src0_sel:WORD_1 src1_sel:WORD_1
	v_sub_f16_e32 v21, v12, v13
	v_sub_f16_sdwa v12, v12, v13 dst_sel:DWORD dst_unused:UNUSED_PAD src0_sel:WORD_1 src1_sel:WORD_1
	v_fma_f16 v13, v21, v16, v19
	v_fma_f16 v22, v20, v16, v12
	v_fma_f16 v19, -v21, v16, v19
	v_fma_f16 v12, v20, v16, -v12
	v_fma_f16 v13, -v14, v20, v13
	v_fma_f16 v16, v21, v14, v22
	v_fma_f16 v19, v14, v20, v19
	;; [unrolled: 1-line block ×3, first 2 shown]
	v_pack_b32_f16 v13, v13, v16
	v_pack_b32_f16 v12, v19, v12
	ds_write_b32 v0, v13 offset:2112
	ds_write_b32 v11, v12 offset:4928
	ds_read_b32 v12, v0 offset:2816
	ds_read_b32 v13, v11 offset:4224
	s_waitcnt vmcnt(0)
	v_lshrrev_b32_e32 v14, 16, v15
	s_waitcnt lgkmcnt(0)
	v_add_f16_e32 v16, v12, v13
	v_add_f16_sdwa v19, v13, v12 dst_sel:DWORD dst_unused:UNUSED_PAD src0_sel:WORD_1 src1_sel:WORD_1
	v_sub_f16_e32 v20, v12, v13
	v_sub_f16_sdwa v12, v12, v13 dst_sel:DWORD dst_unused:UNUSED_PAD src0_sel:WORD_1 src1_sel:WORD_1
	v_fma_f16 v13, v20, v14, v16
	v_fma_f16 v21, v19, v14, v12
	v_fma_f16 v16, -v20, v14, v16
	v_fma_f16 v12, v19, v14, -v12
	v_fma_f16 v13, -v15, v19, v13
	v_fma_f16 v14, v20, v15, v21
	v_fma_f16 v16, v15, v19, v16
	v_fma_f16 v12, v20, v15, v12
	v_pack_b32_f16 v13, v13, v14
	v_pack_b32_f16 v12, v16, v12
	ds_write_b32 v0, v13 offset:2816
	ds_write_b32 v11, v12 offset:4224
	s_waitcnt lgkmcnt(0)
	s_barrier
	s_barrier
	ds_read2_b32 v[11:12], v0 offset1:176
	ds_read2_b32 v[13:14], v18 offset0:64 offset1:240
	ds_read2_b32 v[15:16], v8 offset0:32 offset1:208
	;; [unrolled: 1-line block ×3, first 2 shown]
	ds_read2_b32 v[21:22], v10 offset1:176
	s_waitcnt lgkmcnt(0)
	v_pk_add_f16 v14, v11, v14 neg_lo:[0,1] neg_hi:[0,1]
	v_pk_add_f16 v15, v12, v15 neg_lo:[0,1] neg_hi:[0,1]
	;; [unrolled: 1-line block ×4, first 2 shown]
	v_pk_fma_f16 v11, v11, 2.0, v14 op_sel_hi:[1,0,1] neg_lo:[0,0,1] neg_hi:[0,0,1]
	v_pk_fma_f16 v12, v12, 2.0, v15 op_sel_hi:[1,0,1] neg_lo:[0,0,1] neg_hi:[0,0,1]
	s_barrier
	v_pk_fma_f16 v19, v19, 2.0, v16 op_sel_hi:[1,0,1] neg_lo:[0,0,1] neg_hi:[0,0,1]
	v_pk_fma_f16 v20, v20, 2.0, v21 op_sel_hi:[1,0,1] neg_lo:[0,0,1] neg_hi:[0,0,1]
	ds_write2_b32 v17, v11, v14 offset1:1
	ds_write2_b32 v26, v12, v15 offset1:1
	;; [unrolled: 1-line block ×3, first 2 shown]
	v_lshl_add_u32 v11, v24, 3, 0
	v_pk_add_f16 v12, v13, v22 neg_lo:[0,1] neg_hi:[0,1]
	v_lshl_add_u32 v14, v25, 3, 0
	v_pk_fma_f16 v13, v13, 2.0, v12 op_sel_hi:[1,0,1] neg_lo:[0,0,1] neg_hi:[0,0,1]
	ds_write2_b32 v11, v20, v21 offset1:1
	ds_write2_b32 v14, v13, v12 offset1:1
	v_and_b32_e32 v11, 1, v5
	v_lshlrev_b32_e32 v12, 2, v11
	s_waitcnt lgkmcnt(0)
	s_barrier
	global_load_dword v17, v12, s[12:13]
	v_lshlrev_b32_e32 v26, 1, v5
	v_and_or_b32 v12, v26, s5, v11
	v_lshlrev_b32_e32 v24, 1, v24
	v_lshlrev_b32_e32 v25, 1, v25
	v_lshl_add_u32 v30, v12, 2, 0
	v_and_or_b32 v12, v28, s6, v11
	v_and_or_b32 v13, v23, s7, v11
	v_and_or_b32 v14, v24, s7, v11
	v_and_or_b32 v11, v25, s7, v11
	v_lshl_add_u32 v31, v12, 2, 0
	v_lshl_add_u32 v32, v13, 2, 0
	v_lshl_add_u32 v33, v14, 2, 0
	v_lshl_add_u32 v34, v11, 2, 0
	ds_read2_b32 v[11:12], v10 offset1:176
	ds_read2_b32 v[13:14], v8 offset0:32 offset1:208
	ds_read2_b32 v[15:16], v18 offset0:64 offset1:240
	ds_read2_b32 v[19:20], v0 offset1:176
	ds_read2_b32 v[21:22], v9 offset0:32 offset1:208
	v_and_b32_e32 v27, 3, v5
	v_lshlrev_b32_e32 v29, 2, v27
	s_waitcnt vmcnt(0) lgkmcnt(0)
	s_barrier
	s_movk_i32 s5, 0x1f8
	s_movk_i32 s6, 0x3f8
	s_movk_i32 s7, 0x7f8
	v_pk_mul_f16 v35, v17, v12 op_sel:[0,1]
	v_pk_mul_f16 v36, v17, v11 op_sel:[0,1]
	v_pk_mul_f16 v37, v17, v14 op_sel:[0,1]
	v_pk_mul_f16 v38, v17, v13 op_sel:[0,1]
	v_pk_mul_f16 v39, v17, v16 op_sel:[0,1]
	v_pk_fma_f16 v40, v17, v12, v35 op_sel:[0,0,1] op_sel_hi:[1,1,0]
	v_pk_fma_f16 v12, v17, v12, v35 op_sel:[0,0,1] op_sel_hi:[1,0,0] neg_lo:[1,0,0] neg_hi:[1,0,0]
	v_pk_fma_f16 v35, v17, v11, v36 op_sel:[0,0,1] op_sel_hi:[1,1,0]
	v_pk_fma_f16 v11, v17, v11, v36 op_sel:[0,0,1] op_sel_hi:[1,0,0] neg_lo:[1,0,0] neg_hi:[1,0,0]
	v_pk_fma_f16 v36, v17, v14, v37 op_sel:[0,0,1] op_sel_hi:[1,1,0]
	v_pk_fma_f16 v14, v17, v14, v37 op_sel:[0,0,1] op_sel_hi:[1,0,0] neg_lo:[1,0,0] neg_hi:[1,0,0]
	v_pk_fma_f16 v37, v17, v13, v38 op_sel:[0,0,1] op_sel_hi:[1,1,0]
	v_pk_fma_f16 v13, v17, v13, v38 op_sel:[0,0,1] op_sel_hi:[1,0,0] neg_lo:[1,0,0] neg_hi:[1,0,0]
	v_pk_fma_f16 v38, v17, v16, v39 op_sel:[0,0,1] op_sel_hi:[1,1,0]
	v_pk_fma_f16 v16, v17, v16, v39 op_sel:[0,0,1] op_sel_hi:[1,0,0] neg_lo:[1,0,0] neg_hi:[1,0,0]
	v_bfi_b32 v16, s4, v38, v16
	v_bfi_b32 v13, s4, v37, v13
	v_bfi_b32 v14, s4, v36, v14
	v_bfi_b32 v11, s4, v35, v11
	v_bfi_b32 v12, s4, v40, v12
	v_pk_add_f16 v16, v19, v16 neg_lo:[0,1] neg_hi:[0,1]
	v_pk_add_f16 v13, v20, v13 neg_lo:[0,1] neg_hi:[0,1]
	v_pk_add_f16 v14, v21, v14 neg_lo:[0,1] neg_hi:[0,1]
	v_pk_add_f16 v11, v22, v11 neg_lo:[0,1] neg_hi:[0,1]
	v_pk_add_f16 v12, v15, v12 neg_lo:[0,1] neg_hi:[0,1]
	v_pk_fma_f16 v17, v19, 2.0, v16 op_sel_hi:[1,0,1] neg_lo:[0,0,1] neg_hi:[0,0,1]
	v_pk_fma_f16 v19, v20, 2.0, v13 op_sel_hi:[1,0,1] neg_lo:[0,0,1] neg_hi:[0,0,1]
	v_pk_fma_f16 v20, v21, 2.0, v14 op_sel_hi:[1,0,1] neg_lo:[0,0,1] neg_hi:[0,0,1]
	v_pk_fma_f16 v21, v22, 2.0, v11 op_sel_hi:[1,0,1] neg_lo:[0,0,1] neg_hi:[0,0,1]
	v_pk_fma_f16 v15, v15, 2.0, v12 op_sel_hi:[1,0,1] neg_lo:[0,0,1] neg_hi:[0,0,1]
	ds_write2_b32 v30, v17, v16 offset1:2
	ds_write2_b32 v31, v19, v13 offset1:2
	ds_write2_b32 v32, v20, v14 offset1:2
	ds_write2_b32 v33, v21, v11 offset1:2
	ds_write2_b32 v34, v15, v12 offset1:2
	s_waitcnt lgkmcnt(0)
	s_barrier
	global_load_dword v17, v29, s[12:13] offset:8
	v_and_or_b32 v11, v26, s5, v27
	v_lshl_add_u32 v31, v11, 2, 0
	v_and_or_b32 v11, v28, s6, v27
	v_and_or_b32 v12, v23, s7, v27
	v_and_or_b32 v13, v24, s7, v27
	v_and_or_b32 v14, v25, s7, v27
	v_lshl_add_u32 v27, v11, 2, 0
	v_lshl_add_u32 v32, v12, 2, 0
	v_lshl_add_u32 v33, v13, 2, 0
	v_lshl_add_u32 v34, v14, 2, 0
	ds_read2_b32 v[11:12], v10 offset1:176
	ds_read2_b32 v[13:14], v8 offset0:32 offset1:208
	ds_read2_b32 v[15:16], v18 offset0:64 offset1:240
	ds_read2_b32 v[19:20], v0 offset1:176
	ds_read2_b32 v[21:22], v9 offset0:32 offset1:208
	v_and_b32_e32 v29, 7, v5
	v_lshlrev_b32_e32 v30, 2, v29
	s_waitcnt vmcnt(0) lgkmcnt(0)
	s_barrier
	s_movk_i32 s5, 0x1f0
	s_movk_i32 s6, 0x3f0
	s_movk_i32 s7, 0x7f0
	v_pk_mul_f16 v35, v17, v12 op_sel:[0,1]
	v_pk_mul_f16 v36, v17, v11 op_sel:[0,1]
	v_pk_mul_f16 v37, v17, v14 op_sel:[0,1]
	v_pk_mul_f16 v38, v17, v13 op_sel:[0,1]
	v_pk_mul_f16 v39, v17, v16 op_sel:[0,1]
	v_pk_fma_f16 v40, v17, v12, v35 op_sel:[0,0,1] op_sel_hi:[1,1,0]
	v_pk_fma_f16 v12, v17, v12, v35 op_sel:[0,0,1] op_sel_hi:[1,0,0] neg_lo:[1,0,0] neg_hi:[1,0,0]
	v_pk_fma_f16 v35, v17, v11, v36 op_sel:[0,0,1] op_sel_hi:[1,1,0]
	v_pk_fma_f16 v11, v17, v11, v36 op_sel:[0,0,1] op_sel_hi:[1,0,0] neg_lo:[1,0,0] neg_hi:[1,0,0]
	v_pk_fma_f16 v36, v17, v14, v37 op_sel:[0,0,1] op_sel_hi:[1,1,0]
	v_pk_fma_f16 v14, v17, v14, v37 op_sel:[0,0,1] op_sel_hi:[1,0,0] neg_lo:[1,0,0] neg_hi:[1,0,0]
	v_pk_fma_f16 v37, v17, v13, v38 op_sel:[0,0,1] op_sel_hi:[1,1,0]
	v_pk_fma_f16 v13, v17, v13, v38 op_sel:[0,0,1] op_sel_hi:[1,0,0] neg_lo:[1,0,0] neg_hi:[1,0,0]
	v_pk_fma_f16 v38, v17, v16, v39 op_sel:[0,0,1] op_sel_hi:[1,1,0]
	v_pk_fma_f16 v16, v17, v16, v39 op_sel:[0,0,1] op_sel_hi:[1,0,0] neg_lo:[1,0,0] neg_hi:[1,0,0]
	v_bfi_b32 v16, s4, v38, v16
	v_bfi_b32 v13, s4, v37, v13
	v_bfi_b32 v14, s4, v36, v14
	v_bfi_b32 v11, s4, v35, v11
	v_bfi_b32 v12, s4, v40, v12
	v_pk_add_f16 v16, v19, v16 neg_lo:[0,1] neg_hi:[0,1]
	v_pk_add_f16 v13, v20, v13 neg_lo:[0,1] neg_hi:[0,1]
	v_pk_add_f16 v14, v21, v14 neg_lo:[0,1] neg_hi:[0,1]
	v_pk_add_f16 v11, v22, v11 neg_lo:[0,1] neg_hi:[0,1]
	v_pk_add_f16 v12, v15, v12 neg_lo:[0,1] neg_hi:[0,1]
	v_pk_fma_f16 v17, v19, 2.0, v16 op_sel_hi:[1,0,1] neg_lo:[0,0,1] neg_hi:[0,0,1]
	v_pk_fma_f16 v19, v20, 2.0, v13 op_sel_hi:[1,0,1] neg_lo:[0,0,1] neg_hi:[0,0,1]
	v_pk_fma_f16 v20, v21, 2.0, v14 op_sel_hi:[1,0,1] neg_lo:[0,0,1] neg_hi:[0,0,1]
	v_pk_fma_f16 v21, v22, 2.0, v11 op_sel_hi:[1,0,1] neg_lo:[0,0,1] neg_hi:[0,0,1]
	v_pk_fma_f16 v15, v15, 2.0, v12 op_sel_hi:[1,0,1] neg_lo:[0,0,1] neg_hi:[0,0,1]
	ds_write2_b32 v31, v17, v16 offset1:4
	ds_write2_b32 v27, v19, v13 offset1:4
	ds_write2_b32 v32, v20, v14 offset1:4
	ds_write2_b32 v33, v21, v11 offset1:4
	ds_write2_b32 v34, v15, v12 offset1:4
	s_waitcnt lgkmcnt(0)
	s_barrier
	global_load_dword v17, v30, s[12:13] offset:24
	v_and_or_b32 v11, v26, s5, v29
	;; [unrolled: 60-line block ×3, first 2 shown]
	v_and_or_b32 v12, v28, s6, v27
	v_and_or_b32 v13, v23, s7, v27
	;; [unrolled: 1-line block ×4, first 2 shown]
	v_lshl_add_u32 v23, v11, 2, 0
	v_lshl_add_u32 v24, v12, 2, 0
	;; [unrolled: 1-line block ×5, first 2 shown]
	ds_read2_b32 v[10:11], v10 offset1:176
	ds_read2_b32 v[12:13], v8 offset0:32 offset1:208
	ds_read2_b32 v[14:15], v18 offset0:64 offset1:240
	;; [unrolled: 1-line block ×3, first 2 shown]
	ds_read2_b32 v[21:22], v0 offset1:176
	s_waitcnt vmcnt(0) lgkmcnt(0)
	s_barrier
	v_pk_mul_f16 v8, v16, v11 op_sel:[0,1]
	v_pk_mul_f16 v9, v16, v10 op_sel:[0,1]
	;; [unrolled: 1-line block ×5, first 2 shown]
	v_pk_fma_f16 v30, v16, v11, v8 op_sel:[0,0,1] op_sel_hi:[1,1,0]
	v_pk_fma_f16 v8, v16, v11, v8 op_sel:[0,0,1] op_sel_hi:[1,0,0] neg_lo:[1,0,0] neg_hi:[1,0,0]
	v_pk_fma_f16 v11, v16, v10, v9 op_sel:[0,0,1] op_sel_hi:[1,1,0]
	v_pk_fma_f16 v9, v16, v10, v9 op_sel:[0,0,1] op_sel_hi:[1,0,0] neg_lo:[1,0,0] neg_hi:[1,0,0]
	;; [unrolled: 2-line block ×5, first 2 shown]
	v_bfi_b32 v8, s4, v30, v8
	v_bfi_b32 v9, s4, v11, v9
	;; [unrolled: 1-line block ×5, first 2 shown]
	v_pk_add_f16 v11, v14, v8 neg_lo:[0,1] neg_hi:[0,1]
	v_pk_add_f16 v15, v20, v9 neg_lo:[0,1] neg_hi:[0,1]
	;; [unrolled: 1-line block ×5, first 2 shown]
	v_pk_fma_f16 v10, v14, 2.0, v11 op_sel_hi:[1,0,1] neg_lo:[0,0,1] neg_hi:[0,0,1]
	v_pk_fma_f16 v14, v20, 2.0, v15 op_sel_hi:[1,0,1] neg_lo:[0,0,1] neg_hi:[0,0,1]
	;; [unrolled: 1-line block ×5, first 2 shown]
	v_lshrrev_b32_e32 v25, 16, v11
	v_lshrrev_b32_e32 v32, 16, v15
	;; [unrolled: 1-line block ×4, first 2 shown]
	ds_write2_b32 v23, v8, v9 offset1:16
	ds_write2_b32 v24, v16, v17 offset1:16
	;; [unrolled: 1-line block ×5, first 2 shown]
	v_lshrrev_b32_e32 v31, 16, v10
	v_lshrrev_b32_e32 v33, 16, v14
	;; [unrolled: 1-line block ×6, first 2 shown]
	s_waitcnt lgkmcnt(0)
	s_barrier
	s_waitcnt lgkmcnt(0)
                                        ; implicit-def: $vgpr27
                                        ; implicit-def: $vgpr22
	s_and_saveexec_b64 s[4:5], vcc
	s_cbranch_execz .LBB0_21
; %bb.20:
	v_add_u32_e32 v10, 0x400, v0
	v_add_u32_e32 v11, 0x1400, v0
	;; [unrolled: 1-line block ×3, first 2 shown]
	ds_read2_b32 v[8:9], v0 offset1:160
	ds_read2_b32 v[16:17], v10 offset0:64 offset1:224
	ds_read2_b32 v[10:11], v11 offset1:160
	ds_read2_b32 v[12:13], v18 offset1:160
	ds_read_b32 v22, v0 offset:6400
	ds_read2_b32 v[14:15], v14 offset0:64 offset1:224
	s_waitcnt lgkmcnt(5)
	v_lshrrev_b32_e32 v19, 16, v8
	s_waitcnt lgkmcnt(3)
	v_lshrrev_b32_e32 v31, 16, v10
	v_lshrrev_b32_e32 v25, 16, v11
	s_waitcnt lgkmcnt(1)
	v_lshrrev_b32_e32 v27, 16, v22
	v_lshrrev_b32_e32 v21, 16, v9
	;; [unrolled: 1-line block ×6, first 2 shown]
	s_waitcnt lgkmcnt(0)
	v_lshrrev_b32_e32 v33, 16, v14
	v_lshrrev_b32_e32 v32, 16, v15
.LBB0_21:
	s_or_b64 exec, exec, s[4:5]
	s_barrier
	s_and_saveexec_b64 s[4:5], vcc
	s_cbranch_execz .LBB0_23
; %bb.22:
	v_and_b32_e32 v18, 31, v5
	v_mul_u32_u24_e32 v23, 10, v18
	v_lshlrev_b32_e32 v23, 2, v23
	global_load_dwordx4 v[34:37], v23, s[12:13] offset:120
	global_load_dwordx2 v[42:43], v23, s[12:13] offset:152
	global_load_dwordx4 v[38:41], v23, s[12:13] offset:136
	s_movk_i32 s8, 0x36a6
	s_mov_b32 s7, 0xb93d
	s_mov_b32 s6, 0xbbad
	;; [unrolled: 1-line block ×3, first 2 shown]
	s_movk_i32 s14, 0x3abb
	s_movk_i32 s15, 0x3b47
	s_waitcnt vmcnt(2)
	v_mul_f16_sdwa v45, v9, v34 dst_sel:DWORD dst_unused:UNUSED_PAD src0_sel:DWORD src1_sel:WORD_1
	v_mul_f16_sdwa v46, v21, v34 dst_sel:DWORD dst_unused:UNUSED_PAD src0_sel:DWORD src1_sel:WORD_1
	s_waitcnt vmcnt(1)
	v_mul_f16_sdwa v49, v27, v43 dst_sel:DWORD dst_unused:UNUSED_PAD src0_sel:DWORD src1_sel:WORD_1
	v_mul_f16_sdwa v50, v22, v43 dst_sel:DWORD dst_unused:UNUSED_PAD src0_sel:DWORD src1_sel:WORD_1
	;; [unrolled: 1-line block ×7, first 2 shown]
	s_waitcnt vmcnt(0)
	v_mul_f16_sdwa v53, v31, v41 dst_sel:DWORD dst_unused:UNUSED_PAD src0_sel:DWORD src1_sel:WORD_1
	v_mul_f16_sdwa v54, v10, v41 dst_sel:DWORD dst_unused:UNUSED_PAD src0_sel:DWORD src1_sel:WORD_1
	;; [unrolled: 1-line block ×4, first 2 shown]
	v_fma_f16 v21, v21, v34, -v45
	v_fma_f16 v34, v9, v34, v46
	v_fma_f16 v22, v22, v43, v49
	v_fma_f16 v9, v27, v43, -v50
	v_mul_f16_sdwa v24, v20, v36 dst_sel:DWORD dst_unused:UNUSED_PAD src0_sel:DWORD src1_sel:WORD_1
	v_mul_f16_sdwa v44, v17, v36 dst_sel:DWORD dst_unused:UNUSED_PAD src0_sel:DWORD src1_sel:WORD_1
	;; [unrolled: 1-line block ×7, first 2 shown]
	v_fma_f16 v23, v16, v35, v23
	v_fma_f16 v16, v26, v35, -v29
	v_fma_f16 v26, v12, v37, v48
	v_fma_f16 v12, v25, v42, -v51
	v_fma_f16 v25, v11, v42, v52
	v_fma_f16 v27, v10, v41, v53
	;; [unrolled: 1-line block ×3, first 2 shown]
	v_fma_f16 v10, v31, v41, -v54
	v_fma_f16 v13, v33, v39, -v58
	v_sub_f16_e32 v31, v21, v9
	v_sub_f16_e32 v33, v34, v22
	v_fma_f16 v24, v17, v36, v24
	v_fma_f16 v17, v20, v36, -v44
	v_fma_f16 v20, v28, v37, -v47
	v_fma_f16 v15, v15, v40, v55
	v_fma_f16 v28, v14, v39, v56
	v_fma_f16 v11, v32, v40, -v57
	v_fma_f16 v14, v30, v38, -v60
	v_add_f16_e32 v30, v34, v22
	v_add_f16_e32 v32, v8, v34
	;; [unrolled: 1-line block ×3, first 2 shown]
	v_sub_f16_e32 v35, v23, v25
	v_mul_f16_e32 v38, 0xbb47, v31
	v_mul_f16_e32 v39, 0xbbeb, v31
	;; [unrolled: 1-line block ×6, first 2 shown]
	v_add_f16_e32 v36, v16, v12
	v_mul_f16_e32 v43, 0xba0c, v35
	v_fma_f16 v44, v30, s6, -v41
	v_fma_f16 v41, v30, s6, v41
	v_fma_f16 v45, v30, s7, -v40
	v_fma_f16 v40, v30, s7, v40
	;; [unrolled: 2-line block ×4, first 2 shown]
	v_fma_f16 v48, v30, s14, v31
	v_fma_f16 v30, v30, s14, -v31
	v_fma_f16 v31, v34, s8, v42
	v_sub_f16_e32 v37, v24, v27
	v_fma_f16 v49, v36, s7, v43
	v_add_f16_e32 v47, v8, v47
	v_add_f16_e32 v46, v8, v46
	v_add_f16_e32 v45, v8, v45
	v_add_f16_e32 v44, v8, v44
	v_add_f16_e32 v41, v8, v41
	v_add_f16_e32 v40, v8, v40
	v_add_f16_e32 v39, v8, v39
	v_add_f16_e32 v38, v8, v38
	v_add_f16_e32 v48, v8, v48
	v_add_f16_e32 v8, v8, v30
	v_add_f16_e32 v30, v19, v31
	v_add_f16_e32 v30, v49, v30
	v_mul_f16_e32 v31, 0x3482, v37
	v_add_f16_e32 v49, v17, v10
	v_fma_f16 v50, v49, s6, v31
	v_add_f16_e32 v30, v50, v30
	v_sub_f16_e32 v50, v26, v15
	v_mul_f16_e32 v51, 0x3beb, v50
	v_add_f16_e32 v52, v20, v11
	v_fma_f16 v53, v52, s9, v51
	v_add_f16_e32 v30, v53, v30
	v_sub_f16_e32 v53, v29, v28
	v_mul_f16_e32 v54, 0x3853, v53
	v_add_f16_e32 v55, v14, v13
	v_fma_f16 v56, v55, s14, v54
	v_sub_f16_e32 v57, v16, v12
	v_add_f16_e32 v30, v56, v30
	v_add_f16_e32 v56, v23, v25
	v_mul_f16_e32 v58, 0xba0c, v57
	v_fma_f16 v59, v56, s7, -v58
	v_sub_f16_e32 v60, v17, v10
	v_add_f16_e32 v47, v59, v47
	v_add_f16_e32 v59, v24, v27
	v_mul_f16_e32 v61, 0x3482, v60
	v_fma_f16 v62, v59, s6, -v61
	v_sub_f16_e32 v63, v20, v11
	v_add_f16_e32 v47, v62, v47
	v_add_f16_e32 v62, v26, v15
	v_mul_f16_e32 v64, 0x3beb, v63
	v_fma_f16 v65, v62, s9, -v64
	v_sub_f16_e32 v66, v14, v13
	v_add_f16_e32 v47, v65, v47
	v_add_f16_e32 v65, v29, v28
	v_mul_f16_e32 v67, 0x3853, v66
	v_fma_f16 v68, v65, s14, -v67
	v_add_f16_e32 v47, v68, v47
	v_mul_f16_e32 v68, 0xbbeb, v33
	v_fma_f16 v69, v34, s9, v68
	v_mul_f16_e32 v70, 0x3482, v35
	v_add_f16_e32 v69, v19, v69
	v_fma_f16 v71, v36, s6, v70
	v_add_f16_e32 v69, v71, v69
	v_mul_f16_e32 v71, 0x3b47, v37
	v_fma_f16 v72, v49, s8, v71
	v_add_f16_e32 v69, v72, v69
	v_mul_f16_e32 v72, 0xb853, v50
	;; [unrolled: 3-line block ×4, first 2 shown]
	v_fma_f16 v75, v56, s6, -v74
	v_add_f16_e32 v46, v75, v46
	v_mul_f16_e32 v75, 0x3b47, v60
	v_fma_f16 v76, v59, s8, -v75
	v_add_f16_e32 v46, v76, v46
	v_mul_f16_e32 v76, 0xb853, v63
	;; [unrolled: 3-line block ×4, first 2 shown]
	v_fma_f16 v79, v34, s7, v78
	v_mul_f16_e32 v80, 0x3beb, v35
	v_add_f16_e32 v79, v19, v79
	v_fma_f16 v81, v36, s9, v80
	v_add_f16_e32 v79, v81, v79
	v_mul_f16_e32 v81, 0xb853, v37
	v_fma_f16 v82, v49, s14, v81
	v_add_f16_e32 v79, v82, v79
	v_mul_f16_e32 v82, 0xb482, v50
	;; [unrolled: 3-line block ×4, first 2 shown]
	v_fma_f16 v85, v56, s9, -v84
	v_add_f16_e32 v45, v85, v45
	v_mul_f16_e32 v85, 0xb853, v60
	v_fma_f16 v86, v59, s14, -v85
	v_add_f16_e32 v45, v86, v45
	v_mul_f16_e32 v86, 0xb482, v63
	v_fma_f16 v87, v62, s6, -v86
	v_add_f16_e32 v45, v87, v45
	v_mul_f16_e32 v87, 0x3b47, v66
	v_fma_f16 v88, v65, s8, -v87
	v_add_f16_e32 v45, v88, v45
	v_mul_f16_e32 v88, 0xb482, v33
	v_fma_f16 v89, v34, s6, v88
	v_mul_f16_e32 v90, 0x3853, v35
	v_add_f16_e32 v89, v19, v89
	v_fma_f16 v91, v36, s14, v90
	v_fma_f16 v42, v34, s8, -v42
	v_add_f16_e32 v89, v91, v89
	v_mul_f16_e32 v91, 0xba0c, v37
	v_fma_f16 v68, v34, s9, -v68
	v_add_f16_e32 v42, v19, v42
	v_fma_f16 v43, v36, s7, -v43
	v_fma_f16 v92, v49, s7, v91
	v_fma_f16 v78, v34, s7, -v78
	v_add_f16_e32 v68, v19, v68
	v_fma_f16 v70, v36, s6, -v70
	v_add_f16_e32 v42, v43, v42
	;; [unrolled: 2-line block ×3, first 2 shown]
	v_mul_f16_e32 v92, 0x3b47, v50
	v_fma_f16 v88, v34, s6, -v88
	v_add_f16_e32 v78, v19, v78
	v_fma_f16 v80, v36, s9, -v80
	v_add_f16_e32 v68, v70, v68
	;; [unrolled: 2-line block ×3, first 2 shown]
	v_fma_f16 v42, v52, s9, -v51
	v_fma_f16 v93, v52, s8, v92
	v_add_f16_e32 v88, v19, v88
	v_fma_f16 v90, v36, s14, -v90
	v_add_f16_e32 v78, v80, v78
	v_fma_f16 v80, v49, s14, -v81
	;; [unrolled: 2-line block ×4, first 2 shown]
	v_add_f16_e32 v89, v93, v89
	v_mul_f16_e32 v93, 0xbbeb, v53
	v_add_f16_e32 v88, v90, v88
	v_fma_f16 v90, v49, s7, -v91
	v_add_f16_e32 v78, v80, v78
	v_fma_f16 v80, v52, s6, -v82
	v_add_f16_e32 v68, v70, v68
	v_fma_f16 v70, v55, s7, -v73
	v_add_f16_e32 v31, v42, v31
	v_fma_f16 v42, v56, s7, v58
	v_fma_f16 v94, v55, s9, v93
	v_add_f16_e32 v88, v90, v88
	v_fma_f16 v90, v52, s8, -v92
	v_add_f16_e32 v78, v80, v78
	v_fma_f16 v80, v55, s8, -v83
	v_add_f16_e32 v68, v70, v68
	v_fma_f16 v70, v56, s6, v74
	v_add_f16_e32 v38, v42, v38
	v_fma_f16 v42, v59, s6, v61
	v_add_f16_e32 v89, v94, v89
	v_mul_f16_e32 v94, 0x3853, v57
	v_add_f16_e32 v88, v90, v88
	v_fma_f16 v90, v55, s9, -v93
	v_add_f16_e32 v78, v80, v78
	v_fma_f16 v80, v56, s9, v84
	v_add_f16_e32 v39, v70, v39
	v_fma_f16 v70, v59, s8, v75
	;; [unrolled: 2-line block ×3, first 2 shown]
	v_fma_f16 v95, v56, s14, -v94
	v_add_f16_e32 v88, v90, v88
	v_fma_f16 v90, v56, s14, v94
	v_add_f16_e32 v40, v80, v40
	v_fma_f16 v80, v59, s14, v85
	;; [unrolled: 2-line block ×4, first 2 shown]
	s_movk_i32 s14, 0x3853
	v_mul_f16_e32 v34, 0x3abb, v34
	v_add_f16_e32 v21, v19, v21
	v_add_f16_e32 v38, v42, v38
	v_fma_f16 v42, v33, s14, v34
	v_mul_f16_e32 v36, 0x36a6, v36
	v_add_f16_e32 v16, v21, v16
	v_add_f16_e32 v42, v19, v42
	v_fma_f16 v43, v35, s15, v36
	v_add_f16_e32 v16, v16, v17
	v_add_f16_e32 v42, v43, v42
	s_movk_i32 s14, 0x3beb
	v_mul_f16_e32 v43, 0xb08e, v49
	v_add_f16_e32 v16, v16, v20
	v_fma_f16 v49, v37, s14, v43
	v_add_f16_e32 v14, v16, v14
	v_add_f16_e32 v42, v49, v42
	v_mul_f16_e32 v49, 0xb93d, v52
	s_movk_i32 s14, 0x3a0c
	v_add_f16_e32 v13, v14, v13
	v_fma_f16 v51, v50, s14, v49
	v_add_f16_e32 v11, v13, v11
	v_add_f16_e32 v42, v51, v42
	s_movk_i32 s14, 0x3482
	v_mul_f16_e32 v51, 0xbbad, v55
	v_add_f16_e32 v10, v11, v10
	v_fma_f16 v52, v53, s14, v51
	v_add_f16_e32 v10, v10, v12
	s_mov_b32 s14, 0xb853
	v_add_f16_e32 v9, v10, v9
	v_fma_f16 v10, v33, s14, v34
	s_mov_b32 s14, 0xbb47
	v_add_f16_e32 v42, v52, v42
	v_mul_f16_e32 v52, 0xbb47, v57
	v_add_f16_e32 v10, v19, v10
	v_fma_f16 v11, v35, s14, v36
	s_mov_b32 s14, 0xbbeb
	v_fma_f16 v54, v56, s8, v52
	v_add_f16_e32 v10, v11, v10
	v_fma_f16 v11, v37, s14, v43
	s_mov_b32 s14, 0xba0c
	v_add_f16_e32 v48, v54, v48
	v_mul_f16_e32 v54, 0xbbeb, v60
	v_add_f16_e32 v23, v32, v23
	v_add_f16_e32 v10, v11, v10
	v_fma_f16 v11, v50, s14, v49
	s_mov_b32 s14, 0xb482
	v_fma_f16 v55, v59, s9, v54
	v_add_f16_e32 v23, v23, v24
	v_add_f16_e32 v10, v11, v10
	v_fma_f16 v11, v53, s14, v51
	v_add_f16_e32 v48, v55, v48
	v_mul_f16_e32 v55, 0xba0c, v63
	v_add_f16_e32 v23, v23, v26
	v_add_f16_e32 v10, v11, v10
	v_fma_f16 v11, v56, s8, -v52
	v_fma_f16 v57, v62, s7, v55
	v_add_f16_e32 v23, v23, v29
	v_add_f16_e32 v8, v11, v8
	v_fma_f16 v11, v59, s9, -v54
	v_add_f16_e32 v44, v95, v44
	v_mul_f16_e32 v95, 0xba0c, v60
	v_add_f16_e32 v48, v57, v48
	v_mul_f16_e32 v57, 0xb482, v66
	v_add_f16_e32 v23, v23, v28
	v_add_f16_e32 v8, v11, v8
	v_fma_f16 v11, v62, s7, -v55
	v_fma_f16 v96, v59, s7, -v95
	v_add_f16_e32 v15, v23, v15
	v_add_f16_e32 v8, v11, v8
	v_fma_f16 v11, v65, s6, -v57
	v_add_f16_e32 v44, v96, v44
	v_mul_f16_e32 v96, 0x3b47, v63
	v_add_f16_e32 v15, v15, v27
	v_add_f16_e32 v8, v11, v8
	v_lshrrev_b32_e32 v11, 5, v5
	v_fma_f16 v97, v62, s8, -v96
	v_add_f16_e32 v41, v90, v41
	v_fma_f16 v90, v59, s7, v95
	v_fma_f16 v58, v65, s6, v57
	v_add_f16_e32 v15, v15, v25
	v_mul_u32_u24_e32 v11, 0x160, v11
	v_add_f16_e32 v44, v97, v44
	v_mul_f16_e32 v97, 0xbbeb, v66
	v_add_f16_e32 v41, v90, v41
	v_fma_f16 v90, v62, s8, v96
	v_add_f16_e32 v40, v80, v40
	v_fma_f16 v80, v62, s6, v86
	;; [unrolled: 2-line block ×3, first 2 shown]
	v_add_f16_e32 v48, v58, v48
	v_add_f16_e32 v15, v15, v22
	v_or_b32_e32 v11, v11, v18
	v_add_f16_e32 v41, v90, v41
	v_fma_f16 v90, v65, s9, v97
	v_add_f16_e32 v40, v80, v40
	v_fma_f16 v80, v65, s8, v87
	v_add_f16_e32 v39, v70, v39
	v_lshl_add_u32 v11, v11, 2, 0
	v_pack_b32_f16 v9, v15, v9
	v_pack_b32_f16 v12, v48, v42
	v_fma_f16 v98, v65, s9, -v97
	v_add_f16_e32 v41, v90, v41
	v_add_f16_e32 v40, v80, v40
	ds_write2_b32 v11, v9, v12 offset1:32
	v_pack_b32_f16 v9, v38, v31
	v_pack_b32_f16 v12, v39, v68
	v_add_f16_e32 v44, v98, v44
	ds_write2_b32 v11, v9, v12 offset0:64 offset1:96
	v_pack_b32_f16 v9, v40, v78
	v_pack_b32_f16 v12, v41, v88
	ds_write2_b32 v11, v9, v12 offset0:128 offset1:160
	v_pack_b32_f16 v9, v44, v89
	v_pack_b32_f16 v12, v45, v79
	;; [unrolled: 3-line block ×3, first 2 shown]
	v_add_u32_e32 v13, 0x400, v11
	v_pack_b32_f16 v8, v8, v10
	ds_write2_b32 v13, v9, v12 offset1:32
	ds_write_b32 v11, v8 offset:1280
.LBB0_23:
	s_or_b64 exec, exec, s[4:5]
	v_mov_b32_e32 v8, 0
	v_lshlrev_b64 v[9:10], 2, v[7:8]
	v_lshlrev_b32_e32 v7, 2, v6
	v_mov_b32_e32 v13, s13
	v_add_co_u32_e32 v9, vcc, s12, v9
	v_lshlrev_b64 v[6:7], 2, v[7:8]
	v_addc_co_u32_e32 v10, vcc, v13, v10, vcc
	v_add_co_u32_e32 v6, vcc, s12, v6
	s_waitcnt lgkmcnt(0)
	s_barrier
	global_load_dwordx4 v[9:12], v[9:10], off offset:1400
	v_addc_co_u32_e32 v7, vcc, v13, v7, vcc
	global_load_dwordx4 v[13:16], v[6:7], off offset:1400
	v_add_u32_e32 v25, 0x500, v0
	ds_read2_b32 v[6:7], v0 offset1:176
	v_add_u32_e32 v26, 0xa00, v0
	v_add_u32_e32 v27, 0x1000, v0
	;; [unrolled: 1-line block ×3, first 2 shown]
	ds_read2_b32 v[17:18], v25 offset0:32 offset1:208
	ds_read2_b32 v[19:20], v26 offset0:64 offset1:240
	;; [unrolled: 1-line block ×3, first 2 shown]
	ds_read2_b32 v[23:24], v28 offset1:176
	s_mov_b32 s4, 0xbb9c
	s_waitcnt lgkmcnt(3)
	v_lshrrev_b32_e32 v34, 16, v17
	s_waitcnt lgkmcnt(2)
	v_lshrrev_b32_e32 v35, 16, v19
	;; [unrolled: 2-line block ×3, first 2 shown]
	v_lshrrev_b32_e32 v32, 16, v22
	s_waitcnt lgkmcnt(0)
	v_lshrrev_b32_e32 v37, 16, v23
	v_lshrrev_b32_e32 v31, 16, v20
	;; [unrolled: 1-line block ×4, first 2 shown]
	s_movk_i32 s7, 0x3b9c
	s_mov_b32 s5, 0xb8b4
	s_movk_i32 s8, 0x38b4
	s_movk_i32 s6, 0x34f2
	v_lshrrev_b32_e32 v29, 16, v6
	v_lshrrev_b32_e32 v30, 16, v7
	s_waitcnt vmcnt(0)
	s_barrier
	v_mul_f16_sdwa v39, v9, v34 dst_sel:DWORD dst_unused:UNUSED_PAD src0_sel:WORD_1 src1_sel:DWORD
	v_mul_f16_sdwa v40, v9, v17 dst_sel:DWORD dst_unused:UNUSED_PAD src0_sel:WORD_1 src1_sel:DWORD
	;; [unrolled: 1-line block ×8, first 2 shown]
	v_fma_f16 v17, v9, v17, v39
	v_fma_f16 v9, v9, v34, -v40
	v_fma_f16 v19, v10, v19, v41
	v_fma_f16 v21, v11, v21, v43
	v_mul_f16_sdwa v39, v32, v15 dst_sel:DWORD dst_unused:UNUSED_PAD src0_sel:DWORD src1_sel:WORD_1
	v_mul_f16_sdwa v40, v22, v15 dst_sel:DWORD dst_unused:UNUSED_PAD src0_sel:DWORD src1_sel:WORD_1
	v_fma_f16 v10, v10, v35, -v42
	v_fma_f16 v11, v11, v36, -v44
	v_fma_f16 v23, v12, v23, v45
	v_fma_f16 v12, v12, v37, -v46
	v_mul_f16_sdwa v34, v13, v38 dst_sel:DWORD dst_unused:UNUSED_PAD src0_sel:WORD_1 src1_sel:DWORD
	v_mul_f16_sdwa v35, v13, v18 dst_sel:DWORD dst_unused:UNUSED_PAD src0_sel:WORD_1 src1_sel:DWORD
	v_mul_f16_sdwa v36, v31, v14 dst_sel:DWORD dst_unused:UNUSED_PAD src0_sel:DWORD src1_sel:WORD_1
	v_mul_f16_sdwa v41, v33, v16 dst_sel:DWORD dst_unused:UNUSED_PAD src0_sel:DWORD src1_sel:WORD_1
	;; [unrolled: 1-line block ×3, first 2 shown]
	v_fma_f16 v22, v22, v15, v39
	v_fma_f16 v15, v32, v15, -v40
	v_add_f16_e32 v32, v19, v21
	v_mul_f16_sdwa v37, v20, v14 dst_sel:DWORD dst_unused:UNUSED_PAD src0_sel:DWORD src1_sel:WORD_1
	v_fma_f16 v18, v13, v18, v34
	v_fma_f16 v13, v13, v38, -v35
	v_fma_f16 v20, v20, v14, v36
	v_fma_f16 v24, v24, v16, v41
	v_fma_f16 v16, v33, v16, -v42
	v_sub_f16_e32 v33, v9, v12
	v_sub_f16_e32 v35, v17, v19
	;; [unrolled: 1-line block ×3, first 2 shown]
	v_fma_f16 v32, v32, -0.5, v6
	v_sub_f16_e32 v34, v10, v11
	v_add_f16_e32 v35, v35, v36
	v_fma_f16 v36, v33, s4, v32
	v_fma_f16 v32, v33, s7, v32
	v_fma_f16 v36, v34, s5, v36
	v_fma_f16 v32, v34, s8, v32
	v_fma_f16 v36, v35, s6, v36
	v_fma_f16 v32, v35, s6, v32
	v_add_f16_e32 v35, v17, v23
	v_fma_f16 v14, v31, v14, -v37
	v_add_f16_e32 v31, v6, v17
	v_fma_f16 v6, v35, -0.5, v6
	v_add_f16_e32 v31, v31, v19
	v_fma_f16 v35, v34, s7, v6
	v_fma_f16 v6, v34, s4, v6
	v_add_f16_e32 v34, v10, v11
	v_add_f16_e32 v31, v31, v21
	v_sub_f16_e32 v37, v19, v17
	v_sub_f16_e32 v38, v21, v23
	v_fma_f16 v34, v34, -0.5, v29
	v_sub_f16_e32 v17, v17, v23
	v_add_f16_e32 v31, v31, v23
	v_fma_f16 v35, v33, s5, v35
	v_add_f16_e32 v37, v37, v38
	v_fma_f16 v6, v33, s8, v6
	v_fma_f16 v23, v17, s7, v34
	v_sub_f16_e32 v19, v19, v21
	v_fma_f16 v35, v37, s6, v35
	v_fma_f16 v6, v37, s6, v6
	;; [unrolled: 1-line block ×3, first 2 shown]
	v_sub_f16_e32 v23, v9, v10
	v_sub_f16_e32 v37, v12, v11
	v_fma_f16 v34, v17, s4, v34
	v_add_f16_e32 v33, v29, v9
	v_add_f16_e32 v23, v23, v37
	v_fma_f16 v34, v19, s5, v34
	v_add_f16_e32 v33, v33, v10
	v_fma_f16 v21, v23, s6, v21
	v_fma_f16 v23, v23, s6, v34
	v_add_f16_e32 v34, v9, v12
	v_add_f16_e32 v33, v33, v11
	v_fma_f16 v29, v34, -0.5, v29
	v_add_f16_e32 v33, v33, v12
	v_fma_f16 v34, v19, s4, v29
	v_sub_f16_e32 v9, v10, v9
	v_sub_f16_e32 v10, v11, v12
	v_fma_f16 v11, v19, s7, v29
	v_add_f16_e32 v12, v20, v22
	v_fma_f16 v34, v17, s8, v34
	v_add_f16_e32 v9, v9, v10
	v_fma_f16 v11, v17, s5, v11
	v_fma_f16 v12, v12, -0.5, v7
	v_sub_f16_e32 v17, v13, v16
	v_fma_f16 v10, v9, s6, v34
	v_fma_f16 v19, v17, s4, v12
	v_sub_f16_e32 v29, v14, v15
	v_sub_f16_e32 v34, v18, v20
	;; [unrolled: 1-line block ×3, first 2 shown]
	v_fma_f16 v12, v17, s7, v12
	v_fma_f16 v19, v29, s5, v19
	v_add_f16_e32 v34, v34, v37
	v_fma_f16 v12, v29, s8, v12
	v_fma_f16 v19, v34, s6, v19
	;; [unrolled: 1-line block ×3, first 2 shown]
	v_add_f16_e32 v34, v18, v24
	v_fma_f16 v9, v9, s6, v11
	v_add_f16_e32 v11, v7, v18
	v_fma_f16 v7, v34, -0.5, v7
	v_add_f16_e32 v11, v11, v20
	v_fma_f16 v34, v29, s7, v7
	v_fma_f16 v7, v29, s4, v7
	v_add_f16_e32 v29, v14, v15
	v_add_f16_e32 v11, v11, v22
	v_sub_f16_e32 v37, v20, v18
	v_sub_f16_e32 v38, v22, v24
	v_fma_f16 v29, v29, -0.5, v30
	v_sub_f16_e32 v18, v18, v24
	v_add_f16_e32 v11, v11, v24
	v_fma_f16 v34, v17, s5, v34
	v_add_f16_e32 v37, v37, v38
	v_fma_f16 v7, v17, s8, v7
	v_fma_f16 v24, v18, s7, v29
	v_sub_f16_e32 v20, v20, v22
	v_fma_f16 v34, v37, s6, v34
	v_fma_f16 v7, v37, s6, v7
	;; [unrolled: 1-line block ×3, first 2 shown]
	v_sub_f16_e32 v24, v13, v14
	v_sub_f16_e32 v37, v16, v15
	v_fma_f16 v29, v18, s4, v29
	v_add_f16_e32 v24, v24, v37
	v_fma_f16 v29, v20, s5, v29
	v_add_f16_e32 v17, v30, v13
	v_fma_f16 v22, v24, s6, v22
	v_fma_f16 v24, v24, s6, v29
	v_add_f16_e32 v29, v13, v16
	v_add_f16_e32 v17, v17, v14
	v_fma_f16 v29, v29, -0.5, v30
	v_add_f16_e32 v17, v17, v15
	v_fma_f16 v30, v20, s4, v29
	v_sub_f16_e32 v13, v14, v13
	v_sub_f16_e32 v14, v15, v16
	v_fma_f16 v15, v20, s7, v29
	v_add_f16_e32 v17, v17, v16
	v_fma_f16 v30, v18, s8, v30
	v_add_f16_e32 v13, v13, v14
	v_fma_f16 v15, v18, s5, v15
	v_fma_f16 v14, v13, s6, v30
	;; [unrolled: 1-line block ×3, first 2 shown]
	v_pack_b32_f16 v15, v31, v33
	v_pack_b32_f16 v11, v11, v17
	;; [unrolled: 1-line block ×3, first 2 shown]
	ds_write2_b32 v0, v15, v11 offset1:176
	v_pack_b32_f16 v0, v19, v22
	v_pack_b32_f16 v10, v35, v10
	ds_write2_b32 v25, v16, v0 offset0:32 offset1:208
	v_pack_b32_f16 v0, v34, v14
	v_pack_b32_f16 v6, v6, v9
	ds_write2_b32 v26, v10, v0 offset0:64 offset1:240
	;; [unrolled: 3-line block ×3, first 2 shown]
	v_pack_b32_f16 v0, v12, v24
	ds_write2_b32 v28, v9, v0 offset1:176
	s_waitcnt lgkmcnt(0)
	s_barrier
	s_and_saveexec_b64 s[4:5], s[0:1]
	s_cbranch_execz .LBB0_25
; %bb.24:
	v_mul_lo_u32 v0, s3, v3
	v_mul_lo_u32 v6, s2, v4
	v_mad_u64_u32 v[3:4], s[0:1], s2, v3, 0
	v_lshl_add_u32 v11, v5, 2, 0
	ds_read2_b32 v[9:10], v11 offset1:176
	v_add3_u32 v4, v4, v6, v0
	v_lshlrev_b64 v[3:4], 2, v[3:4]
	v_mov_b32_e32 v0, s11
	v_add_co_u32_e32 v3, vcc, s10, v3
	v_addc_co_u32_e32 v4, vcc, v0, v4, vcc
	v_lshlrev_b64 v[0:1], 2, v[1:2]
	v_mov_b32_e32 v6, v8
	v_add_co_u32_e32 v12, vcc, v3, v0
	v_addc_co_u32_e32 v4, vcc, v4, v1, vcc
	v_lshlrev_b64 v[0:1], 2, v[5:6]
	v_add_u32_e32 v7, 0xb0, v5
	v_add_co_u32_e32 v0, vcc, v12, v0
	v_addc_co_u32_e32 v1, vcc, v4, v1, vcc
	s_waitcnt lgkmcnt(0)
	global_store_dword v[0:1], v9, off
	v_lshlrev_b64 v[0:1], 2, v[7:8]
	v_add_u32_e32 v7, 0x160, v5
	v_add_co_u32_e32 v0, vcc, v12, v0
	v_addc_co_u32_e32 v1, vcc, v4, v1, vcc
	global_store_dword v[0:1], v10, off
	v_add_u32_e32 v0, 0x500, v11
	ds_read2_b32 v[0:1], v0 offset0:32 offset1:208
	v_lshlrev_b64 v[2:3], 2, v[7:8]
	v_add_u32_e32 v7, 0x210, v5
	v_add_co_u32_e32 v2, vcc, v12, v2
	v_addc_co_u32_e32 v3, vcc, v4, v3, vcc
	s_waitcnt lgkmcnt(0)
	global_store_dword v[2:3], v0, off
	v_lshlrev_b64 v[2:3], 2, v[7:8]
	v_add_u32_e32 v0, 0xa00, v11
	v_add_co_u32_e32 v2, vcc, v12, v2
	v_addc_co_u32_e32 v3, vcc, v4, v3, vcc
	global_store_dword v[2:3], v1, off
	v_add_u32_e32 v7, 0x2c0, v5
	ds_read2_b32 v[0:1], v0 offset0:64 offset1:240
	;; [unrolled: 13-line block ×3, first 2 shown]
	v_lshlrev_b64 v[2:3], 2, v[7:8]
	v_add_u32_e32 v7, 0x4d0, v5
	v_add_co_u32_e32 v2, vcc, v12, v2
	v_addc_co_u32_e32 v3, vcc, v4, v3, vcc
	s_waitcnt lgkmcnt(0)
	global_store_dword v[2:3], v0, off
	v_lshlrev_b64 v[2:3], 2, v[7:8]
	v_add_u32_e32 v0, 0x1600, v11
	v_add_co_u32_e32 v2, vcc, v12, v2
	v_addc_co_u32_e32 v3, vcc, v4, v3, vcc
	global_store_dword v[2:3], v1, off
	v_add_u32_e32 v7, 0x580, v5
	ds_read2_b32 v[0:1], v0 offset1:176
	v_lshlrev_b64 v[2:3], 2, v[7:8]
	v_add_u32_e32 v7, 0x630, v5
	v_add_co_u32_e32 v2, vcc, v12, v2
	v_addc_co_u32_e32 v3, vcc, v4, v3, vcc
	s_waitcnt lgkmcnt(0)
	global_store_dword v[2:3], v0, off
	v_lshlrev_b64 v[2:3], 2, v[7:8]
	v_add_co_u32_e32 v2, vcc, v12, v2
	v_addc_co_u32_e32 v3, vcc, v4, v3, vcc
	global_store_dword v[2:3], v1, off
.LBB0_25:
	s_endpgm
	.section	.rodata,"a",@progbits
	.p2align	6, 0x0
	.amdhsa_kernel fft_rtc_back_len1760_factors_2_2_2_2_2_11_5_wgs_176_tpt_176_halfLds_half_op_CI_CI_unitstride_sbrr_C2R_dirReg
		.amdhsa_group_segment_fixed_size 0
		.amdhsa_private_segment_fixed_size 0
		.amdhsa_kernarg_size 104
		.amdhsa_user_sgpr_count 6
		.amdhsa_user_sgpr_private_segment_buffer 1
		.amdhsa_user_sgpr_dispatch_ptr 0
		.amdhsa_user_sgpr_queue_ptr 0
		.amdhsa_user_sgpr_kernarg_segment_ptr 1
		.amdhsa_user_sgpr_dispatch_id 0
		.amdhsa_user_sgpr_flat_scratch_init 0
		.amdhsa_user_sgpr_private_segment_size 0
		.amdhsa_uses_dynamic_stack 0
		.amdhsa_system_sgpr_private_segment_wavefront_offset 0
		.amdhsa_system_sgpr_workgroup_id_x 1
		.amdhsa_system_sgpr_workgroup_id_y 0
		.amdhsa_system_sgpr_workgroup_id_z 0
		.amdhsa_system_sgpr_workgroup_info 0
		.amdhsa_system_vgpr_workitem_id 0
		.amdhsa_next_free_vgpr 99
		.amdhsa_next_free_sgpr 28
		.amdhsa_reserve_vcc 1
		.amdhsa_reserve_flat_scratch 0
		.amdhsa_float_round_mode_32 0
		.amdhsa_float_round_mode_16_64 0
		.amdhsa_float_denorm_mode_32 3
		.amdhsa_float_denorm_mode_16_64 3
		.amdhsa_dx10_clamp 1
		.amdhsa_ieee_mode 1
		.amdhsa_fp16_overflow 0
		.amdhsa_exception_fp_ieee_invalid_op 0
		.amdhsa_exception_fp_denorm_src 0
		.amdhsa_exception_fp_ieee_div_zero 0
		.amdhsa_exception_fp_ieee_overflow 0
		.amdhsa_exception_fp_ieee_underflow 0
		.amdhsa_exception_fp_ieee_inexact 0
		.amdhsa_exception_int_div_zero 0
	.end_amdhsa_kernel
	.text
.Lfunc_end0:
	.size	fft_rtc_back_len1760_factors_2_2_2_2_2_11_5_wgs_176_tpt_176_halfLds_half_op_CI_CI_unitstride_sbrr_C2R_dirReg, .Lfunc_end0-fft_rtc_back_len1760_factors_2_2_2_2_2_11_5_wgs_176_tpt_176_halfLds_half_op_CI_CI_unitstride_sbrr_C2R_dirReg
                                        ; -- End function
	.section	.AMDGPU.csdata,"",@progbits
; Kernel info:
; codeLenInByte = 9004
; NumSgprs: 32
; NumVgprs: 99
; ScratchSize: 0
; MemoryBound: 0
; FloatMode: 240
; IeeeMode: 1
; LDSByteSize: 0 bytes/workgroup (compile time only)
; SGPRBlocks: 3
; VGPRBlocks: 24
; NumSGPRsForWavesPerEU: 32
; NumVGPRsForWavesPerEU: 99
; Occupancy: 2
; WaveLimiterHint : 1
; COMPUTE_PGM_RSRC2:SCRATCH_EN: 0
; COMPUTE_PGM_RSRC2:USER_SGPR: 6
; COMPUTE_PGM_RSRC2:TRAP_HANDLER: 0
; COMPUTE_PGM_RSRC2:TGID_X_EN: 1
; COMPUTE_PGM_RSRC2:TGID_Y_EN: 0
; COMPUTE_PGM_RSRC2:TGID_Z_EN: 0
; COMPUTE_PGM_RSRC2:TIDIG_COMP_CNT: 0
	.type	__hip_cuid_43909f5dd0648ef0,@object ; @__hip_cuid_43909f5dd0648ef0
	.section	.bss,"aw",@nobits
	.globl	__hip_cuid_43909f5dd0648ef0
__hip_cuid_43909f5dd0648ef0:
	.byte	0                               ; 0x0
	.size	__hip_cuid_43909f5dd0648ef0, 1

	.ident	"AMD clang version 19.0.0git (https://github.com/RadeonOpenCompute/llvm-project roc-6.4.0 25133 c7fe45cf4b819c5991fe208aaa96edf142730f1d)"
	.section	".note.GNU-stack","",@progbits
	.addrsig
	.addrsig_sym __hip_cuid_43909f5dd0648ef0
	.amdgpu_metadata
---
amdhsa.kernels:
  - .args:
      - .actual_access:  read_only
        .address_space:  global
        .offset:         0
        .size:           8
        .value_kind:     global_buffer
      - .offset:         8
        .size:           8
        .value_kind:     by_value
      - .actual_access:  read_only
        .address_space:  global
        .offset:         16
        .size:           8
        .value_kind:     global_buffer
      - .actual_access:  read_only
        .address_space:  global
        .offset:         24
        .size:           8
        .value_kind:     global_buffer
      - .actual_access:  read_only
        .address_space:  global
        .offset:         32
        .size:           8
        .value_kind:     global_buffer
      - .offset:         40
        .size:           8
        .value_kind:     by_value
      - .actual_access:  read_only
        .address_space:  global
        .offset:         48
        .size:           8
        .value_kind:     global_buffer
      - .actual_access:  read_only
        .address_space:  global
        .offset:         56
        .size:           8
        .value_kind:     global_buffer
      - .offset:         64
        .size:           4
        .value_kind:     by_value
      - .actual_access:  read_only
        .address_space:  global
        .offset:         72
        .size:           8
        .value_kind:     global_buffer
      - .actual_access:  read_only
        .address_space:  global
        .offset:         80
        .size:           8
        .value_kind:     global_buffer
      - .actual_access:  read_only
        .address_space:  global
        .offset:         88
        .size:           8
        .value_kind:     global_buffer
      - .actual_access:  write_only
        .address_space:  global
        .offset:         96
        .size:           8
        .value_kind:     global_buffer
    .group_segment_fixed_size: 0
    .kernarg_segment_align: 8
    .kernarg_segment_size: 104
    .language:       OpenCL C
    .language_version:
      - 2
      - 0
    .max_flat_workgroup_size: 176
    .name:           fft_rtc_back_len1760_factors_2_2_2_2_2_11_5_wgs_176_tpt_176_halfLds_half_op_CI_CI_unitstride_sbrr_C2R_dirReg
    .private_segment_fixed_size: 0
    .sgpr_count:     32
    .sgpr_spill_count: 0
    .symbol:         fft_rtc_back_len1760_factors_2_2_2_2_2_11_5_wgs_176_tpt_176_halfLds_half_op_CI_CI_unitstride_sbrr_C2R_dirReg.kd
    .uniform_work_group_size: 1
    .uses_dynamic_stack: false
    .vgpr_count:     99
    .vgpr_spill_count: 0
    .wavefront_size: 64
amdhsa.target:   amdgcn-amd-amdhsa--gfx906
amdhsa.version:
  - 1
  - 2
...

	.end_amdgpu_metadata
